;; amdgpu-corpus repo=tuanlda78202/gpt-oss-amd kind=compiled arch=gfx906 opt=O3
	.amdgcn_target "amdgcn-amd-amdhsa--gfx906"
	.amdhsa_code_object_version 6
	.text
	.protected	_Z23count_tokens_per_expertPKiPKfiiPiS3_PfS3_i ; -- Begin function _Z23count_tokens_per_expertPKiPKfiiPiS3_PfS3_i
	.globl	_Z23count_tokens_per_expertPKiPKfiiPiS3_PfS3_i
	.p2align	8
	.type	_Z23count_tokens_per_expertPKiPKfiiPiS3_PfS3_i,@function
_Z23count_tokens_per_expertPKiPKfiiPiS3_PfS3_i: ; @_Z23count_tokens_per_expertPKiPKfiiPiS3_PfS3_i
; %bb.0:
	s_load_dword s0, s[4:5], 0x4c
	s_load_dwordx2 s[12:13], s[4:5], 0x10
	s_waitcnt lgkmcnt(0)
	s_and_b32 s0, s0, 0xffff
	s_mul_i32 s6, s6, s0
	v_add_u32_e32 v0, s6, v0
	s_mul_i32 s0, s13, s12
	v_cmp_gt_i32_e32 vcc, s0, v0
	s_and_saveexec_b64 s[0:1], vcc
	s_cbranch_execz .LBB0_3
; %bb.1:
	s_load_dwordx4 s[8:11], s[4:5], 0x0
	s_load_dwordx4 s[0:3], s[4:5], 0x18
	v_ashrrev_i32_e32 v1, 31, v0
	v_lshlrev_b64 v[2:3], 2, v[0:1]
	v_sub_u32_e32 v6, 0, v0
	s_waitcnt lgkmcnt(0)
	v_mov_b32_e32 v1, s9
	v_add_co_u32_e32 v4, vcc, s8, v2
	v_addc_co_u32_e32 v5, vcc, v1, v3, vcc
	global_load_dword v1, v[4:5], off
	v_mov_b32_e32 v5, s11
	v_add_co_u32_e32 v4, vcc, s10, v2
	v_addc_co_u32_e32 v5, vcc, v5, v3, vcc
	global_load_dword v8, v[4:5], off
	s_abs_i32 s8, s13
	v_cvt_f32_u32_e32 v4, s8
	s_sub_i32 s10, 0, s8
	v_xor_b32_e32 v5, s13, v0
	v_max_i32_e32 v0, v0, v6
	v_rcp_iflag_f32_e32 v4, v4
	v_ashrrev_i32_e32 v9, 31, v5
	v_mov_b32_e32 v5, s1
	s_load_dwordx2 s[6:7], s[4:5], 0x28
	s_load_dword s9, s[4:5], 0x38
	v_mul_f32_e32 v4, 0x4f7ffffe, v4
	v_cvt_u32_f32_e32 v7, v4
	v_mov_b32_e32 v10, s3
	s_waitcnt lgkmcnt(0)
	v_mov_b32_e32 v11, s7
	v_mul_lo_u32 v4, s10, v7
	v_mul_hi_u32 v6, v7, v4
	v_add_co_u32_e32 v4, vcc, s0, v2
	v_addc_co_u32_e32 v5, vcc, v5, v3, vcc
	v_add_u32_e32 v6, v7, v6
	v_mul_hi_u32 v12, v0, v6
	v_add_co_u32_e32 v6, vcc, s2, v2
	v_addc_co_u32_e32 v7, vcc, v10, v3, vcc
	v_mul_lo_u32 v10, v12, s8
	v_add_co_u32_e32 v2, vcc, s6, v2
	v_addc_co_u32_e32 v3, vcc, v11, v3, vcc
	v_sub_u32_e32 v0, v0, v10
	v_add_u32_e32 v11, 1, v12
	v_cmp_le_u32_e32 vcc, s8, v0
	v_cndmask_b32_e32 v10, v12, v11, vcc
	v_subrev_u32_e32 v11, s8, v0
	v_cndmask_b32_e32 v0, v0, v11, vcc
	v_add_u32_e32 v11, 1, v10
	v_cmp_le_u32_e32 vcc, s8, v0
	v_cndmask_b32_e32 v0, v10, v11, vcc
	v_xor_b32_e32 v0, v0, v9
	v_sub_u32_e32 v0, v0, v9
	global_store_dword v[6:7], v0, off
	s_waitcnt vmcnt(2)
	global_store_dword v[4:5], v1, off
	s_waitcnt vmcnt(2)
	global_store_dword v[2:3], v8, off
	v_cmp_gt_u32_e32 vcc, s9, v1
	s_and_b64 exec, exec, vcc
	s_cbranch_execz .LBB0_3
; %bb.2:
	s_load_dwordx2 s[0:1], s[4:5], 0x30
	v_ashrrev_i32_e32 v2, 31, v1
	v_lshlrev_b64 v[0:1], 2, v[1:2]
	s_waitcnt lgkmcnt(0)
	v_mov_b32_e32 v2, s1
	v_add_co_u32_e32 v0, vcc, s0, v0
	v_addc_co_u32_e32 v1, vcc, v2, v1, vcc
	v_mov_b32_e32 v2, 1
	global_atomic_add v[0:1], v2, off
.LBB0_3:
	s_endpgm
	.section	.rodata,"a",@progbits
	.p2align	6, 0x0
	.amdhsa_kernel _Z23count_tokens_per_expertPKiPKfiiPiS3_PfS3_i
		.amdhsa_group_segment_fixed_size 0
		.amdhsa_private_segment_fixed_size 0
		.amdhsa_kernarg_size 320
		.amdhsa_user_sgpr_count 6
		.amdhsa_user_sgpr_private_segment_buffer 1
		.amdhsa_user_sgpr_dispatch_ptr 0
		.amdhsa_user_sgpr_queue_ptr 0
		.amdhsa_user_sgpr_kernarg_segment_ptr 1
		.amdhsa_user_sgpr_dispatch_id 0
		.amdhsa_user_sgpr_flat_scratch_init 0
		.amdhsa_user_sgpr_private_segment_size 0
		.amdhsa_uses_dynamic_stack 0
		.amdhsa_system_sgpr_private_segment_wavefront_offset 0
		.amdhsa_system_sgpr_workgroup_id_x 1
		.amdhsa_system_sgpr_workgroup_id_y 0
		.amdhsa_system_sgpr_workgroup_id_z 0
		.amdhsa_system_sgpr_workgroup_info 0
		.amdhsa_system_vgpr_workitem_id 0
		.amdhsa_next_free_vgpr 13
		.amdhsa_next_free_sgpr 14
		.amdhsa_reserve_vcc 1
		.amdhsa_reserve_flat_scratch 0
		.amdhsa_float_round_mode_32 0
		.amdhsa_float_round_mode_16_64 0
		.amdhsa_float_denorm_mode_32 3
		.amdhsa_float_denorm_mode_16_64 3
		.amdhsa_dx10_clamp 1
		.amdhsa_ieee_mode 1
		.amdhsa_fp16_overflow 0
		.amdhsa_exception_fp_ieee_invalid_op 0
		.amdhsa_exception_fp_denorm_src 0
		.amdhsa_exception_fp_ieee_div_zero 0
		.amdhsa_exception_fp_ieee_overflow 0
		.amdhsa_exception_fp_ieee_underflow 0
		.amdhsa_exception_fp_ieee_inexact 0
		.amdhsa_exception_int_div_zero 0
	.end_amdhsa_kernel
	.text
.Lfunc_end0:
	.size	_Z23count_tokens_per_expertPKiPKfiiPiS3_PfS3_i, .Lfunc_end0-_Z23count_tokens_per_expertPKiPKfiiPiS3_PfS3_i
                                        ; -- End function
	.set _Z23count_tokens_per_expertPKiPKfiiPiS3_PfS3_i.num_vgpr, 13
	.set _Z23count_tokens_per_expertPKiPKfiiPiS3_PfS3_i.num_agpr, 0
	.set _Z23count_tokens_per_expertPKiPKfiiPiS3_PfS3_i.numbered_sgpr, 14
	.set _Z23count_tokens_per_expertPKiPKfiiPiS3_PfS3_i.num_named_barrier, 0
	.set _Z23count_tokens_per_expertPKiPKfiiPiS3_PfS3_i.private_seg_size, 0
	.set _Z23count_tokens_per_expertPKiPKfiiPiS3_PfS3_i.uses_vcc, 1
	.set _Z23count_tokens_per_expertPKiPKfiiPiS3_PfS3_i.uses_flat_scratch, 0
	.set _Z23count_tokens_per_expertPKiPKfiiPiS3_PfS3_i.has_dyn_sized_stack, 0
	.set _Z23count_tokens_per_expertPKiPKfiiPiS3_PfS3_i.has_recursion, 0
	.set _Z23count_tokens_per_expertPKiPKfiiPiS3_PfS3_i.has_indirect_call, 0
	.section	.AMDGPU.csdata,"",@progbits
; Kernel info:
; codeLenInByte = 400
; TotalNumSgprs: 18
; NumVgprs: 13
; ScratchSize: 0
; MemoryBound: 0
; FloatMode: 240
; IeeeMode: 1
; LDSByteSize: 0 bytes/workgroup (compile time only)
; SGPRBlocks: 2
; VGPRBlocks: 3
; NumSGPRsForWavesPerEU: 18
; NumVGPRsForWavesPerEU: 13
; Occupancy: 10
; WaveLimiterHint : 1
; COMPUTE_PGM_RSRC2:SCRATCH_EN: 0
; COMPUTE_PGM_RSRC2:USER_SGPR: 6
; COMPUTE_PGM_RSRC2:TRAP_HANDLER: 0
; COMPUTE_PGM_RSRC2:TGID_X_EN: 1
; COMPUTE_PGM_RSRC2:TGID_Y_EN: 0
; COMPUTE_PGM_RSRC2:TGID_Z_EN: 0
; COMPUTE_PGM_RSRC2:TIDIG_COMP_CNT: 0
	.text
	.protected	_Z29exclusive_scan_expert_offsetsPiS_i ; -- Begin function _Z29exclusive_scan_expert_offsetsPiS_i
	.globl	_Z29exclusive_scan_expert_offsetsPiS_i
	.p2align	8
	.type	_Z29exclusive_scan_expert_offsetsPiS_i,@function
_Z29exclusive_scan_expert_offsetsPiS_i: ; @_Z29exclusive_scan_expert_offsetsPiS_i
; %bb.0:
	v_cmp_eq_u32_e32 vcc, 0, v0
	s_and_saveexec_b64 s[0:1], vcc
	s_cbranch_execz .LBB1_8
; %bb.1:
	s_load_dword s9, s[4:5], 0x10
	s_load_dwordx2 s[6:7], s[4:5], 0x8
	v_mov_b32_e32 v3, 0
	s_waitcnt lgkmcnt(0)
	s_cmp_lt_i32 s9, 1
	global_store_dword v3, v3, s[6:7]
	s_cbranch_scc1 .LBB1_8
; %bb.2:
	s_load_dwordx2 s[4:5], s[4:5], 0x0
	s_cmp_lt_u32 s9, 8
	s_mov_b32 s8, 0
	s_cbranch_scc1 .LBB1_5
; %bb.3:
	s_mov_b32 s0, 0
	s_mov_b32 s3, s0
	;; [unrolled: 1-line block ×4, first 2 shown]
	v_mov_b32_e32 v7, s3
	s_and_b32 s8, s9, 0x7ffffff8
	s_mov_b64 s[10:11], 0
	v_mov_b32_e32 v8, 0
	v_mov_b32_e32 v6, s2
	;; [unrolled: 1-line block ×5, first 2 shown]
.LBB1_4:                                ; =>This Inner Loop Header: Depth=1
	s_waitcnt lgkmcnt(0)
	s_add_u32 s2, s4, s10
	s_addc_u32 s3, s5, s11
	global_load_dwordx4 v[9:12], v8, s[2:3]
	global_load_dwordx4 v[13:16], v8, s[2:3] offset:16
	s_add_u32 s12, s6, s10
	s_addc_u32 s13, s7, s11
	global_store_dwordx4 v8, v[4:7], s[2:3]
	global_store_dwordx4 v8, v[4:7], s[2:3] offset:16
	s_add_i32 s0, s0, 8
	s_add_u32 s10, s10, 32
	s_addc_u32 s11, s11, 0
	s_cmp_lg_u32 s8, s0
	s_waitcnt vmcnt(3)
	v_add_u32_e32 v0, v9, v3
	v_add_u32_e32 v1, v10, v0
	v_add_u32_e32 v2, v11, v1
	v_add_u32_e32 v3, v12, v2
	global_store_dwordx4 v8, v[0:3], s[12:13] offset:4
	s_waitcnt vmcnt(3)
	v_add_u32_e32 v0, v13, v3
	v_add_u32_e32 v1, v14, v0
	;; [unrolled: 1-line block ×4, first 2 shown]
	global_store_dwordx4 v8, v[0:3], s[12:13] offset:20
	s_cbranch_scc1 .LBB1_4
.LBB1_5:
	s_and_b32 s10, s9, 7
	s_cmp_eq_u32 s10, 0
	s_mov_b32 s9, 0
	s_cbranch_scc1 .LBB1_8
; %bb.6:
	s_lshl_b64 s[2:3], s[8:9], 2
	s_add_u32 s0, s6, s2
	s_addc_u32 s1, s7, s3
	s_add_u32 s0, s0, 4
	s_addc_u32 s1, s1, 0
	s_waitcnt lgkmcnt(0)
	s_add_u32 s2, s4, s2
	s_addc_u32 s3, s5, s3
	v_mov_b32_e32 v0, 0
.LBB1_7:                                ; =>This Inner Loop Header: Depth=1
	global_load_dword v1, v0, s[2:3]
	s_waitcnt vmcnt(0)
	v_add_u32_e32 v3, v1, v3
	global_store_dword v0, v3, s[0:1]
	s_add_u32 s0, s0, 4
	s_addc_u32 s1, s1, 0
	global_store_dword v0, v0, s[2:3]
	s_add_u32 s2, s2, 4
	s_addc_u32 s3, s3, 0
	s_add_i32 s10, s10, -1
	s_cmp_lg_u32 s10, 0
	s_cbranch_scc1 .LBB1_7
.LBB1_8:
	s_endpgm
	.section	.rodata,"a",@progbits
	.p2align	6, 0x0
	.amdhsa_kernel _Z29exclusive_scan_expert_offsetsPiS_i
		.amdhsa_group_segment_fixed_size 0
		.amdhsa_private_segment_fixed_size 0
		.amdhsa_kernarg_size 20
		.amdhsa_user_sgpr_count 6
		.amdhsa_user_sgpr_private_segment_buffer 1
		.amdhsa_user_sgpr_dispatch_ptr 0
		.amdhsa_user_sgpr_queue_ptr 0
		.amdhsa_user_sgpr_kernarg_segment_ptr 1
		.amdhsa_user_sgpr_dispatch_id 0
		.amdhsa_user_sgpr_flat_scratch_init 0
		.amdhsa_user_sgpr_private_segment_size 0
		.amdhsa_uses_dynamic_stack 0
		.amdhsa_system_sgpr_private_segment_wavefront_offset 0
		.amdhsa_system_sgpr_workgroup_id_x 1
		.amdhsa_system_sgpr_workgroup_id_y 0
		.amdhsa_system_sgpr_workgroup_id_z 0
		.amdhsa_system_sgpr_workgroup_info 0
		.amdhsa_system_vgpr_workitem_id 0
		.amdhsa_next_free_vgpr 17
		.amdhsa_next_free_sgpr 14
		.amdhsa_reserve_vcc 1
		.amdhsa_reserve_flat_scratch 0
		.amdhsa_float_round_mode_32 0
		.amdhsa_float_round_mode_16_64 0
		.amdhsa_float_denorm_mode_32 3
		.amdhsa_float_denorm_mode_16_64 3
		.amdhsa_dx10_clamp 1
		.amdhsa_ieee_mode 1
		.amdhsa_fp16_overflow 0
		.amdhsa_exception_fp_ieee_invalid_op 0
		.amdhsa_exception_fp_denorm_src 0
		.amdhsa_exception_fp_ieee_div_zero 0
		.amdhsa_exception_fp_ieee_overflow 0
		.amdhsa_exception_fp_ieee_underflow 0
		.amdhsa_exception_fp_ieee_inexact 0
		.amdhsa_exception_int_div_zero 0
	.end_amdhsa_kernel
	.text
.Lfunc_end1:
	.size	_Z29exclusive_scan_expert_offsetsPiS_i, .Lfunc_end1-_Z29exclusive_scan_expert_offsetsPiS_i
                                        ; -- End function
	.set _Z29exclusive_scan_expert_offsetsPiS_i.num_vgpr, 17
	.set _Z29exclusive_scan_expert_offsetsPiS_i.num_agpr, 0
	.set _Z29exclusive_scan_expert_offsetsPiS_i.numbered_sgpr, 14
	.set _Z29exclusive_scan_expert_offsetsPiS_i.num_named_barrier, 0
	.set _Z29exclusive_scan_expert_offsetsPiS_i.private_seg_size, 0
	.set _Z29exclusive_scan_expert_offsetsPiS_i.uses_vcc, 1
	.set _Z29exclusive_scan_expert_offsetsPiS_i.uses_flat_scratch, 0
	.set _Z29exclusive_scan_expert_offsetsPiS_i.has_dyn_sized_stack, 0
	.set _Z29exclusive_scan_expert_offsetsPiS_i.has_recursion, 0
	.set _Z29exclusive_scan_expert_offsetsPiS_i.has_indirect_call, 0
	.section	.AMDGPU.csdata,"",@progbits
; Kernel info:
; codeLenInByte = 368
; TotalNumSgprs: 18
; NumVgprs: 17
; ScratchSize: 0
; MemoryBound: 0
; FloatMode: 240
; IeeeMode: 1
; LDSByteSize: 0 bytes/workgroup (compile time only)
; SGPRBlocks: 2
; VGPRBlocks: 4
; NumSGPRsForWavesPerEU: 18
; NumVGPRsForWavesPerEU: 17
; Occupancy: 10
; WaveLimiterHint : 0
; COMPUTE_PGM_RSRC2:SCRATCH_EN: 0
; COMPUTE_PGM_RSRC2:USER_SGPR: 6
; COMPUTE_PGM_RSRC2:TRAP_HANDLER: 0
; COMPUTE_PGM_RSRC2:TGID_X_EN: 1
; COMPUTE_PGM_RSRC2:TGID_Y_EN: 0
; COMPUTE_PGM_RSRC2:TGID_Z_EN: 0
; COMPUTE_PGM_RSRC2:TIDIG_COMP_CNT: 0
	.text
	.protected	_Z24compact_by_expert_kernelPKiS0_PKfiS0_PiS3_Pf ; -- Begin function _Z24compact_by_expert_kernelPKiS0_PKfiS0_PiS3_Pf
	.globl	_Z24compact_by_expert_kernelPKiS0_PKfiS0_PiS3_Pf
	.p2align	8
	.type	_Z24compact_by_expert_kernelPKiS0_PKfiS0_PiS3_Pf,@function
_Z24compact_by_expert_kernelPKiS0_PKfiS0_PiS3_Pf: ; @_Z24compact_by_expert_kernelPKiS0_PKfiS0_PiS3_Pf
; %bb.0:
	s_load_dword s0, s[4:5], 0x4c
	s_load_dword s1, s[4:5], 0x18
	s_waitcnt lgkmcnt(0)
	s_and_b32 s0, s0, 0xffff
	s_mul_i32 s6, s6, s0
	v_add_u32_e32 v0, s6, v0
	v_cmp_gt_i32_e32 vcc, s1, v0
	s_and_saveexec_b64 s[0:1], vcc
	s_cbranch_execz .LBB2_2
; %bb.1:
	s_load_dwordx4 s[0:3], s[4:5], 0x0
	s_load_dwordx2 s[6:7], s[4:5], 0x10
	v_ashrrev_i32_e32 v1, 31, v0
	v_lshlrev_b64 v[0:1], 2, v[0:1]
	s_load_dwordx8 s[8:15], s[4:5], 0x20
	s_waitcnt lgkmcnt(0)
	v_mov_b32_e32 v3, s1
	v_add_co_u32_e32 v2, vcc, s0, v0
	v_addc_co_u32_e32 v3, vcc, v3, v1, vcc
	global_load_dword v2, v[2:3], off
	v_mov_b32_e32 v5, s11
	v_mov_b32_e32 v6, 1
	v_mov_b32_e32 v7, s9
	v_mov_b32_e32 v8, s15
	s_waitcnt vmcnt(0)
	v_ashrrev_i32_e32 v3, 31, v2
	v_lshlrev_b64 v[2:3], 2, v[2:3]
	v_add_co_u32_e32 v4, vcc, s10, v2
	v_addc_co_u32_e32 v5, vcc, v5, v3, vcc
	v_add_co_u32_e32 v2, vcc, s8, v2
	v_addc_co_u32_e32 v3, vcc, v7, v3, vcc
	global_atomic_add v4, v[4:5], v6, off glc
	v_mov_b32_e32 v6, s7
	global_load_dword v5, v[2:3], off
	v_mov_b32_e32 v3, s3
	v_add_co_u32_e32 v2, vcc, s2, v0
	v_addc_co_u32_e32 v3, vcc, v3, v1, vcc
	v_add_co_u32_e32 v0, vcc, s6, v0
	v_addc_co_u32_e32 v1, vcc, v6, v1, vcc
	global_load_dword v6, v[2:3], off
	global_load_dword v7, v[0:1], off
	v_mov_b32_e32 v3, s13
	s_waitcnt vmcnt(2)
	v_add_u32_e32 v0, v5, v4
	v_ashrrev_i32_e32 v1, 31, v0
	v_lshlrev_b64 v[0:1], 2, v[0:1]
	v_add_co_u32_e32 v2, vcc, s12, v0
	v_addc_co_u32_e32 v3, vcc, v3, v1, vcc
	v_add_co_u32_e32 v0, vcc, s14, v0
	v_addc_co_u32_e32 v1, vcc, v8, v1, vcc
	s_waitcnt vmcnt(1)
	global_store_dword v[2:3], v6, off
	s_waitcnt vmcnt(1)
	global_store_dword v[0:1], v7, off
.LBB2_2:
	s_endpgm
	.section	.rodata,"a",@progbits
	.p2align	6, 0x0
	.amdhsa_kernel _Z24compact_by_expert_kernelPKiS0_PKfiS0_PiS3_Pf
		.amdhsa_group_segment_fixed_size 0
		.amdhsa_private_segment_fixed_size 0
		.amdhsa_kernarg_size 320
		.amdhsa_user_sgpr_count 6
		.amdhsa_user_sgpr_private_segment_buffer 1
		.amdhsa_user_sgpr_dispatch_ptr 0
		.amdhsa_user_sgpr_queue_ptr 0
		.amdhsa_user_sgpr_kernarg_segment_ptr 1
		.amdhsa_user_sgpr_dispatch_id 0
		.amdhsa_user_sgpr_flat_scratch_init 0
		.amdhsa_user_sgpr_private_segment_size 0
		.amdhsa_uses_dynamic_stack 0
		.amdhsa_system_sgpr_private_segment_wavefront_offset 0
		.amdhsa_system_sgpr_workgroup_id_x 1
		.amdhsa_system_sgpr_workgroup_id_y 0
		.amdhsa_system_sgpr_workgroup_id_z 0
		.amdhsa_system_sgpr_workgroup_info 0
		.amdhsa_system_vgpr_workitem_id 0
		.amdhsa_next_free_vgpr 9
		.amdhsa_next_free_sgpr 16
		.amdhsa_reserve_vcc 1
		.amdhsa_reserve_flat_scratch 0
		.amdhsa_float_round_mode_32 0
		.amdhsa_float_round_mode_16_64 0
		.amdhsa_float_denorm_mode_32 3
		.amdhsa_float_denorm_mode_16_64 3
		.amdhsa_dx10_clamp 1
		.amdhsa_ieee_mode 1
		.amdhsa_fp16_overflow 0
		.amdhsa_exception_fp_ieee_invalid_op 0
		.amdhsa_exception_fp_denorm_src 0
		.amdhsa_exception_fp_ieee_div_zero 0
		.amdhsa_exception_fp_ieee_overflow 0
		.amdhsa_exception_fp_ieee_underflow 0
		.amdhsa_exception_fp_ieee_inexact 0
		.amdhsa_exception_int_div_zero 0
	.end_amdhsa_kernel
	.text
.Lfunc_end2:
	.size	_Z24compact_by_expert_kernelPKiS0_PKfiS0_PiS3_Pf, .Lfunc_end2-_Z24compact_by_expert_kernelPKiS0_PKfiS0_PiS3_Pf
                                        ; -- End function
	.set _Z24compact_by_expert_kernelPKiS0_PKfiS0_PiS3_Pf.num_vgpr, 9
	.set _Z24compact_by_expert_kernelPKiS0_PKfiS0_PiS3_Pf.num_agpr, 0
	.set _Z24compact_by_expert_kernelPKiS0_PKfiS0_PiS3_Pf.numbered_sgpr, 16
	.set _Z24compact_by_expert_kernelPKiS0_PKfiS0_PiS3_Pf.num_named_barrier, 0
	.set _Z24compact_by_expert_kernelPKiS0_PKfiS0_PiS3_Pf.private_seg_size, 0
	.set _Z24compact_by_expert_kernelPKiS0_PKfiS0_PiS3_Pf.uses_vcc, 1
	.set _Z24compact_by_expert_kernelPKiS0_PKfiS0_PiS3_Pf.uses_flat_scratch, 0
	.set _Z24compact_by_expert_kernelPKiS0_PKfiS0_PiS3_Pf.has_dyn_sized_stack, 0
	.set _Z24compact_by_expert_kernelPKiS0_PKfiS0_PiS3_Pf.has_recursion, 0
	.set _Z24compact_by_expert_kernelPKiS0_PKfiS0_PiS3_Pf.has_indirect_call, 0
	.section	.AMDGPU.csdata,"",@progbits
; Kernel info:
; codeLenInByte = 280
; TotalNumSgprs: 20
; NumVgprs: 9
; ScratchSize: 0
; MemoryBound: 0
; FloatMode: 240
; IeeeMode: 1
; LDSByteSize: 0 bytes/workgroup (compile time only)
; SGPRBlocks: 2
; VGPRBlocks: 2
; NumSGPRsForWavesPerEU: 20
; NumVGPRsForWavesPerEU: 9
; Occupancy: 10
; WaveLimiterHint : 1
; COMPUTE_PGM_RSRC2:SCRATCH_EN: 0
; COMPUTE_PGM_RSRC2:USER_SGPR: 6
; COMPUTE_PGM_RSRC2:TRAP_HANDLER: 0
; COMPUTE_PGM_RSRC2:TGID_X_EN: 1
; COMPUTE_PGM_RSRC2:TGID_Y_EN: 0
; COMPUTE_PGM_RSRC2:TGID_Z_EN: 0
; COMPUTE_PGM_RSRC2:TIDIG_COMP_CNT: 0
	.text
	.protected	_Z23gather_rows_vec4_kernelPKfPKiPfii ; -- Begin function _Z23gather_rows_vec4_kernelPKfPKiPfii
	.globl	_Z23gather_rows_vec4_kernelPKfPKiPfii
	.p2align	8
	.type	_Z23gather_rows_vec4_kernelPKfPKiPfii,@function
_Z23gather_rows_vec4_kernelPKfPKiPfii:  ; @_Z23gather_rows_vec4_kernelPKfPKiPfii
; %bb.0:
	s_load_dword s1, s[4:5], 0x2c
	s_load_dwordx2 s[2:3], s[4:5], 0x18
	s_mov_b32 s0, s7
	s_waitcnt lgkmcnt(0)
	s_and_b32 s1, s1, 0xffff
	s_mul_i32 s6, s6, s1
	v_add_u32_e32 v0, s6, v0
	s_cmp_lt_i32 s7, s2
	s_cselect_b64 s[6:7], -1, 0
	v_cmp_gt_i32_e32 vcc, s3, v0
	s_and_b64 s[6:7], s[6:7], vcc
	s_and_saveexec_b64 s[8:9], s[6:7]
	s_cbranch_execz .LBB3_2
; %bb.1:
	s_load_dwordx4 s[8:11], s[4:5], 0x0
	s_load_dwordx2 s[6:7], s[4:5], 0x10
	s_ashr_i32 s1, s0, 31
	s_lshl_b64 s[4:5], s[0:1], 2
	s_mul_i32 s0, s3, s0
	s_waitcnt lgkmcnt(0)
	s_add_u32 s4, s10, s4
	s_addc_u32 s5, s11, s5
	s_load_dword s1, s[4:5], 0x0
	v_mov_b32_e32 v3, s9
	v_add_u32_e32 v5, s0, v0
	v_ashrrev_i32_e32 v6, 31, v5
	v_lshlrev_b64 v[5:6], 4, v[5:6]
	s_waitcnt lgkmcnt(0)
	s_mul_i32 s1, s1, s3
	v_add_u32_e32 v1, s1, v0
	v_ashrrev_i32_e32 v2, 31, v1
	v_lshlrev_b64 v[1:2], 4, v[1:2]
	v_mov_b32_e32 v0, s7
	v_add_co_u32_e32 v1, vcc, s8, v1
	v_addc_co_u32_e32 v2, vcc, v3, v2, vcc
	global_load_dwordx4 v[1:4], v[1:2], off
	v_add_co_u32_e32 v5, vcc, s6, v5
	v_addc_co_u32_e32 v6, vcc, v0, v6, vcc
	s_waitcnt vmcnt(0)
	global_store_dwordx4 v[5:6], v[1:4], off
.LBB3_2:
	s_endpgm
	.section	.rodata,"a",@progbits
	.p2align	6, 0x0
	.amdhsa_kernel _Z23gather_rows_vec4_kernelPKfPKiPfii
		.amdhsa_group_segment_fixed_size 0
		.amdhsa_private_segment_fixed_size 0
		.amdhsa_kernarg_size 288
		.amdhsa_user_sgpr_count 6
		.amdhsa_user_sgpr_private_segment_buffer 1
		.amdhsa_user_sgpr_dispatch_ptr 0
		.amdhsa_user_sgpr_queue_ptr 0
		.amdhsa_user_sgpr_kernarg_segment_ptr 1
		.amdhsa_user_sgpr_dispatch_id 0
		.amdhsa_user_sgpr_flat_scratch_init 0
		.amdhsa_user_sgpr_private_segment_size 0
		.amdhsa_uses_dynamic_stack 0
		.amdhsa_system_sgpr_private_segment_wavefront_offset 0
		.amdhsa_system_sgpr_workgroup_id_x 1
		.amdhsa_system_sgpr_workgroup_id_y 1
		.amdhsa_system_sgpr_workgroup_id_z 0
		.amdhsa_system_sgpr_workgroup_info 0
		.amdhsa_system_vgpr_workitem_id 0
		.amdhsa_next_free_vgpr 7
		.amdhsa_next_free_sgpr 12
		.amdhsa_reserve_vcc 1
		.amdhsa_reserve_flat_scratch 0
		.amdhsa_float_round_mode_32 0
		.amdhsa_float_round_mode_16_64 0
		.amdhsa_float_denorm_mode_32 3
		.amdhsa_float_denorm_mode_16_64 3
		.amdhsa_dx10_clamp 1
		.amdhsa_ieee_mode 1
		.amdhsa_fp16_overflow 0
		.amdhsa_exception_fp_ieee_invalid_op 0
		.amdhsa_exception_fp_denorm_src 0
		.amdhsa_exception_fp_ieee_div_zero 0
		.amdhsa_exception_fp_ieee_overflow 0
		.amdhsa_exception_fp_ieee_underflow 0
		.amdhsa_exception_fp_ieee_inexact 0
		.amdhsa_exception_int_div_zero 0
	.end_amdhsa_kernel
	.text
.Lfunc_end3:
	.size	_Z23gather_rows_vec4_kernelPKfPKiPfii, .Lfunc_end3-_Z23gather_rows_vec4_kernelPKfPKiPfii
                                        ; -- End function
	.set _Z23gather_rows_vec4_kernelPKfPKiPfii.num_vgpr, 7
	.set _Z23gather_rows_vec4_kernelPKfPKiPfii.num_agpr, 0
	.set _Z23gather_rows_vec4_kernelPKfPKiPfii.numbered_sgpr, 12
	.set _Z23gather_rows_vec4_kernelPKfPKiPfii.num_named_barrier, 0
	.set _Z23gather_rows_vec4_kernelPKfPKiPfii.private_seg_size, 0
	.set _Z23gather_rows_vec4_kernelPKfPKiPfii.uses_vcc, 1
	.set _Z23gather_rows_vec4_kernelPKfPKiPfii.uses_flat_scratch, 0
	.set _Z23gather_rows_vec4_kernelPKfPKiPfii.has_dyn_sized_stack, 0
	.set _Z23gather_rows_vec4_kernelPKfPKiPfii.has_recursion, 0
	.set _Z23gather_rows_vec4_kernelPKfPKiPfii.has_indirect_call, 0
	.section	.AMDGPU.csdata,"",@progbits
; Kernel info:
; codeLenInByte = 200
; TotalNumSgprs: 16
; NumVgprs: 7
; ScratchSize: 0
; MemoryBound: 0
; FloatMode: 240
; IeeeMode: 1
; LDSByteSize: 0 bytes/workgroup (compile time only)
; SGPRBlocks: 1
; VGPRBlocks: 1
; NumSGPRsForWavesPerEU: 16
; NumVGPRsForWavesPerEU: 7
; Occupancy: 10
; WaveLimiterHint : 0
; COMPUTE_PGM_RSRC2:SCRATCH_EN: 0
; COMPUTE_PGM_RSRC2:USER_SGPR: 6
; COMPUTE_PGM_RSRC2:TRAP_HANDLER: 0
; COMPUTE_PGM_RSRC2:TGID_X_EN: 1
; COMPUTE_PGM_RSRC2:TGID_Y_EN: 1
; COMPUTE_PGM_RSRC2:TGID_Z_EN: 0
; COMPUTE_PGM_RSRC2:TIDIG_COMP_CNT: 0
	.text
	.protected	_Z18gather_rows_kernelPKfPKiPfii ; -- Begin function _Z18gather_rows_kernelPKfPKiPfii
	.globl	_Z18gather_rows_kernelPKfPKiPfii
	.p2align	8
	.type	_Z18gather_rows_kernelPKfPKiPfii,@function
_Z18gather_rows_kernelPKfPKiPfii:       ; @_Z18gather_rows_kernelPKfPKiPfii
; %bb.0:
	s_load_dword s1, s[4:5], 0x2c
	s_load_dwordx2 s[2:3], s[4:5], 0x18
	s_mov_b32 s0, s7
	s_waitcnt lgkmcnt(0)
	s_and_b32 s1, s1, 0xffff
	s_mul_i32 s6, s6, s1
	v_add_u32_e32 v0, s6, v0
	s_cmp_lt_i32 s7, s2
	s_cselect_b64 s[6:7], -1, 0
	v_cmp_gt_i32_e32 vcc, s3, v0
	s_and_b64 s[6:7], s[6:7], vcc
	s_and_saveexec_b64 s[8:9], s[6:7]
	s_cbranch_execz .LBB4_2
; %bb.1:
	s_load_dwordx4 s[8:11], s[4:5], 0x0
	s_load_dwordx2 s[6:7], s[4:5], 0x10
	s_ashr_i32 s1, s0, 31
	s_lshl_b64 s[4:5], s[0:1], 2
	s_mul_i32 s0, s3, s0
	s_waitcnt lgkmcnt(0)
	s_add_u32 s4, s10, s4
	s_addc_u32 s5, s11, s5
	s_load_dword s1, s[4:5], 0x0
	v_mov_b32_e32 v3, s9
	s_waitcnt lgkmcnt(0)
	s_mul_i32 s1, s1, s3
	v_add_u32_e32 v1, s1, v0
	v_ashrrev_i32_e32 v2, 31, v1
	v_lshlrev_b64 v[1:2], 2, v[1:2]
	v_add_u32_e32 v0, s0, v0
	v_add_co_u32_e32 v1, vcc, s8, v1
	v_addc_co_u32_e32 v2, vcc, v3, v2, vcc
	global_load_dword v2, v[1:2], off
	v_ashrrev_i32_e32 v1, 31, v0
	v_lshlrev_b64 v[0:1], 2, v[0:1]
	v_mov_b32_e32 v3, s7
	v_add_co_u32_e32 v0, vcc, s6, v0
	v_addc_co_u32_e32 v1, vcc, v3, v1, vcc
	s_waitcnt vmcnt(0)
	global_store_dword v[0:1], v2, off
.LBB4_2:
	s_endpgm
	.section	.rodata,"a",@progbits
	.p2align	6, 0x0
	.amdhsa_kernel _Z18gather_rows_kernelPKfPKiPfii
		.amdhsa_group_segment_fixed_size 0
		.amdhsa_private_segment_fixed_size 0
		.amdhsa_kernarg_size 288
		.amdhsa_user_sgpr_count 6
		.amdhsa_user_sgpr_private_segment_buffer 1
		.amdhsa_user_sgpr_dispatch_ptr 0
		.amdhsa_user_sgpr_queue_ptr 0
		.amdhsa_user_sgpr_kernarg_segment_ptr 1
		.amdhsa_user_sgpr_dispatch_id 0
		.amdhsa_user_sgpr_flat_scratch_init 0
		.amdhsa_user_sgpr_private_segment_size 0
		.amdhsa_uses_dynamic_stack 0
		.amdhsa_system_sgpr_private_segment_wavefront_offset 0
		.amdhsa_system_sgpr_workgroup_id_x 1
		.amdhsa_system_sgpr_workgroup_id_y 1
		.amdhsa_system_sgpr_workgroup_id_z 0
		.amdhsa_system_sgpr_workgroup_info 0
		.amdhsa_system_vgpr_workitem_id 0
		.amdhsa_next_free_vgpr 4
		.amdhsa_next_free_sgpr 12
		.amdhsa_reserve_vcc 1
		.amdhsa_reserve_flat_scratch 0
		.amdhsa_float_round_mode_32 0
		.amdhsa_float_round_mode_16_64 0
		.amdhsa_float_denorm_mode_32 3
		.amdhsa_float_denorm_mode_16_64 3
		.amdhsa_dx10_clamp 1
		.amdhsa_ieee_mode 1
		.amdhsa_fp16_overflow 0
		.amdhsa_exception_fp_ieee_invalid_op 0
		.amdhsa_exception_fp_denorm_src 0
		.amdhsa_exception_fp_ieee_div_zero 0
		.amdhsa_exception_fp_ieee_overflow 0
		.amdhsa_exception_fp_ieee_underflow 0
		.amdhsa_exception_fp_ieee_inexact 0
		.amdhsa_exception_int_div_zero 0
	.end_amdhsa_kernel
	.text
.Lfunc_end4:
	.size	_Z18gather_rows_kernelPKfPKiPfii, .Lfunc_end4-_Z18gather_rows_kernelPKfPKiPfii
                                        ; -- End function
	.set _Z18gather_rows_kernelPKfPKiPfii.num_vgpr, 4
	.set _Z18gather_rows_kernelPKfPKiPfii.num_agpr, 0
	.set _Z18gather_rows_kernelPKfPKiPfii.numbered_sgpr, 12
	.set _Z18gather_rows_kernelPKfPKiPfii.num_named_barrier, 0
	.set _Z18gather_rows_kernelPKfPKiPfii.private_seg_size, 0
	.set _Z18gather_rows_kernelPKfPKiPfii.uses_vcc, 1
	.set _Z18gather_rows_kernelPKfPKiPfii.uses_flat_scratch, 0
	.set _Z18gather_rows_kernelPKfPKiPfii.has_dyn_sized_stack, 0
	.set _Z18gather_rows_kernelPKfPKiPfii.has_recursion, 0
	.set _Z18gather_rows_kernelPKfPKiPfii.has_indirect_call, 0
	.section	.AMDGPU.csdata,"",@progbits
; Kernel info:
; codeLenInByte = 200
; TotalNumSgprs: 16
; NumVgprs: 4
; ScratchSize: 0
; MemoryBound: 0
; FloatMode: 240
; IeeeMode: 1
; LDSByteSize: 0 bytes/workgroup (compile time only)
; SGPRBlocks: 1
; VGPRBlocks: 0
; NumSGPRsForWavesPerEU: 16
; NumVGPRsForWavesPerEU: 4
; Occupancy: 10
; WaveLimiterHint : 1
; COMPUTE_PGM_RSRC2:SCRATCH_EN: 0
; COMPUTE_PGM_RSRC2:USER_SGPR: 6
; COMPUTE_PGM_RSRC2:TRAP_HANDLER: 0
; COMPUTE_PGM_RSRC2:TGID_X_EN: 1
; COMPUTE_PGM_RSRC2:TGID_Y_EN: 1
; COMPUTE_PGM_RSRC2:TGID_Z_EN: 0
; COMPUTE_PGM_RSRC2:TIDIG_COMP_CNT: 0
	.text
	.protected	_Z23build_expert_work_queuePKiPiP4Int2i ; -- Begin function _Z23build_expert_work_queuePKiPiP4Int2i
	.globl	_Z23build_expert_work_queuePKiPiP4Int2i
	.p2align	8
	.type	_Z23build_expert_work_queuePKiPiP4Int2i,@function
_Z23build_expert_work_queuePKiPiP4Int2i: ; @_Z23build_expert_work_queuePKiPiP4Int2i
; %bb.0:
	v_or_b32_e32 v0, s6, v0
	s_mov_b32 s8, 0
	v_cmp_eq_u32_e32 vcc, 0, v0
	s_and_saveexec_b64 s[0:1], vcc
	s_cbranch_execz .LBB5_7
; %bb.1:
	s_load_dword s9, s[4:5], 0x18
	s_load_dwordx2 s[6:7], s[4:5], 0x10
	s_mov_b32 s10, 0
	s_waitcnt lgkmcnt(0)
	s_cmp_lt_i32 s9, 1
	s_cbranch_scc1 .LBB5_6
; %bb.2:
	s_load_dwordx4 s[0:3], s[4:5], 0x0
	v_mov_b32_e32 v0, 0
	s_mov_b32 s4, 0
	s_waitcnt lgkmcnt(0)
	s_load_dword s11, s[0:1], 0x0
	s_add_u32 s0, s0, 4
	s_addc_u32 s1, s1, 0
	s_load_dword s5, s[0:1], 0x0
	s_waitcnt lgkmcnt(0)
	s_sub_i32 s12, s5, s11
	s_cmp_lt_i32 s12, 1
	s_cbranch_scc1 .LBB5_4
.LBB5_3:
	s_mul_i32 s14, s8, 3
	s_ashr_i32 s15, s14, 31
	s_lshl_b64 s[14:15], s[14:15], 2
	s_add_u32 s14, s2, s14
	s_addc_u32 s15, s3, s15
	v_mov_b32_e32 v1, s4
	v_mov_b32_e32 v2, s11
	;; [unrolled: 1-line block ×3, first 2 shown]
	s_add_i32 s8, s8, 1
	s_max_i32 s10, s12, s10
	global_store_dwordx3 v0, v[1:3], s[14:15]
.LBB5_4:                                ; =>This Inner Loop Header: Depth=1
	s_add_i32 s4, s4, 1
	s_add_u32 s0, s0, 4
	s_addc_u32 s1, s1, 0
	s_cmp_eq_u32 s9, s4
	s_cbranch_scc1 .LBB5_6
; %bb.5:                                ;   in Loop: Header=BB5_4 Depth=1
	s_mov_b32 s11, s5
	s_load_dword s5, s[0:1], 0x0
	s_waitcnt lgkmcnt(0)
	s_sub_i32 s12, s5, s11
	s_cmp_lt_i32 s12, 1
	s_cbranch_scc0 .LBB5_3
	s_branch .LBB5_4
.LBB5_6:
	v_mov_b32_e32 v0, s8
	v_mov_b32_e32 v1, s10
	;; [unrolled: 1-line block ×3, first 2 shown]
	global_store_dwordx2 v2, v[0:1], s[6:7]
.LBB5_7:
	s_endpgm
	.section	.rodata,"a",@progbits
	.p2align	6, 0x0
	.amdhsa_kernel _Z23build_expert_work_queuePKiPiP4Int2i
		.amdhsa_group_segment_fixed_size 0
		.amdhsa_private_segment_fixed_size 0
		.amdhsa_kernarg_size 28
		.amdhsa_user_sgpr_count 6
		.amdhsa_user_sgpr_private_segment_buffer 1
		.amdhsa_user_sgpr_dispatch_ptr 0
		.amdhsa_user_sgpr_queue_ptr 0
		.amdhsa_user_sgpr_kernarg_segment_ptr 1
		.amdhsa_user_sgpr_dispatch_id 0
		.amdhsa_user_sgpr_flat_scratch_init 0
		.amdhsa_user_sgpr_private_segment_size 0
		.amdhsa_uses_dynamic_stack 0
		.amdhsa_system_sgpr_private_segment_wavefront_offset 0
		.amdhsa_system_sgpr_workgroup_id_x 1
		.amdhsa_system_sgpr_workgroup_id_y 0
		.amdhsa_system_sgpr_workgroup_id_z 0
		.amdhsa_system_sgpr_workgroup_info 0
		.amdhsa_system_vgpr_workitem_id 0
		.amdhsa_next_free_vgpr 4
		.amdhsa_next_free_sgpr 16
		.amdhsa_reserve_vcc 1
		.amdhsa_reserve_flat_scratch 0
		.amdhsa_float_round_mode_32 0
		.amdhsa_float_round_mode_16_64 0
		.amdhsa_float_denorm_mode_32 3
		.amdhsa_float_denorm_mode_16_64 3
		.amdhsa_dx10_clamp 1
		.amdhsa_ieee_mode 1
		.amdhsa_fp16_overflow 0
		.amdhsa_exception_fp_ieee_invalid_op 0
		.amdhsa_exception_fp_denorm_src 0
		.amdhsa_exception_fp_ieee_div_zero 0
		.amdhsa_exception_fp_ieee_overflow 0
		.amdhsa_exception_fp_ieee_underflow 0
		.amdhsa_exception_fp_ieee_inexact 0
		.amdhsa_exception_int_div_zero 0
	.end_amdhsa_kernel
	.text
.Lfunc_end5:
	.size	_Z23build_expert_work_queuePKiPiP4Int2i, .Lfunc_end5-_Z23build_expert_work_queuePKiPiP4Int2i
                                        ; -- End function
	.set _Z23build_expert_work_queuePKiPiP4Int2i.num_vgpr, 4
	.set _Z23build_expert_work_queuePKiPiP4Int2i.num_agpr, 0
	.set _Z23build_expert_work_queuePKiPiP4Int2i.numbered_sgpr, 16
	.set _Z23build_expert_work_queuePKiPiP4Int2i.num_named_barrier, 0
	.set _Z23build_expert_work_queuePKiPiP4Int2i.private_seg_size, 0
	.set _Z23build_expert_work_queuePKiPiP4Int2i.uses_vcc, 1
	.set _Z23build_expert_work_queuePKiPiP4Int2i.uses_flat_scratch, 0
	.set _Z23build_expert_work_queuePKiPiP4Int2i.has_dyn_sized_stack, 0
	.set _Z23build_expert_work_queuePKiPiP4Int2i.has_recursion, 0
	.set _Z23build_expert_work_queuePKiPiP4Int2i.has_indirect_call, 0
	.section	.AMDGPU.csdata,"",@progbits
; Kernel info:
; codeLenInByte = 236
; TotalNumSgprs: 20
; NumVgprs: 4
; ScratchSize: 0
; MemoryBound: 0
; FloatMode: 240
; IeeeMode: 1
; LDSByteSize: 0 bytes/workgroup (compile time only)
; SGPRBlocks: 2
; VGPRBlocks: 0
; NumSGPRsForWavesPerEU: 20
; NumVGPRsForWavesPerEU: 4
; Occupancy: 10
; WaveLimiterHint : 0
; COMPUTE_PGM_RSRC2:SCRATCH_EN: 0
; COMPUTE_PGM_RSRC2:USER_SGPR: 6
; COMPUTE_PGM_RSRC2:TRAP_HANDLER: 0
; COMPUTE_PGM_RSRC2:TGID_X_EN: 1
; COMPUTE_PGM_RSRC2:TGID_Y_EN: 0
; COMPUTE_PGM_RSRC2:TGID_Z_EN: 0
; COMPUTE_PGM_RSRC2:TIDIG_COMP_CNT: 0
	.text
	.protected	_Z25classify_and_build_queuesPKiiiffPiS1_P8MoEStats ; -- Begin function _Z25classify_and_build_queuesPKiiiffPiS1_P8MoEStats
	.globl	_Z25classify_and_build_queuesPKiiiffPiS1_P8MoEStats
	.p2align	8
	.type	_Z25classify_and_build_queuesPKiiiffPiS1_P8MoEStats,@function
_Z25classify_and_build_queuesPKiiiffPiS1_P8MoEStats: ; @_Z25classify_and_build_queuesPKiiiffPiS1_P8MoEStats
; %bb.0:
	v_or_b32_e32 v0, s6, v0
	s_mov_b32 s18, 0
	v_cmp_eq_u32_e32 vcc, 0, v0
	s_and_saveexec_b64 s[0:1], vcc
	s_cbranch_execz .LBB6_18
; %bb.1:
	s_load_dwordx8 s[8:15], s[4:5], 0x8
	s_load_dwordx2 s[6:7], s[4:5], 0x0
	s_load_dwordx2 s[2:3], s[4:5], 0x28
	s_waitcnt lgkmcnt(0)
	s_cmp_gt_i32 s8, 0
	s_cselect_b64 s[0:1], -1, 0
	s_cmp_lt_i32 s8, 1
	s_cbranch_scc1 .LBB6_14
; %bb.2:
	s_load_dword s20, s[6:7], 0x0
	s_add_u32 s16, s6, 4
	s_addc_u32 s17, s7, 0
	s_mov_b64 s[4:5], 0
	s_mov_b32 s19, s8
.LBB6_3:                                ; =>This Inner Loop Header: Depth=1
	s_load_dword s22, s[16:17], 0x0
	s_waitcnt lgkmcnt(0)
	s_sub_i32 s23, s22, s20
	s_cmp_gt_i32 s23, 0
	s_cselect_b64 s[20:21], -1, 0
	s_max_i32 s23, s23, 0
	s_add_u32 s4, s4, s23
	s_addc_u32 s5, s5, 0
	s_cmp_lg_u64 s[20:21], 0
	s_addc_u32 s18, s18, 0
	s_add_u32 s16, s16, 4
	s_addc_u32 s17, s17, 0
	s_add_i32 s19, s19, -1
	s_cmp_eq_u32 s19, 0
	s_mov_b32 s20, s22
	s_cbranch_scc0 .LBB6_3
; %bb.4:
	s_cmp_lg_u32 s18, 0
	s_mov_b32 s17, 0
	s_cbranch_scc0 .LBB6_15
.LBB6_5:
	s_andn2_b64 vcc, exec, s[0:1]
	s_cbranch_vccnz .LBB6_16
; %bb.6:
	s_flbit_i32_b32 s0, s5
	s_min_u32 s16, s0, 32
	s_lshl_b64 s[0:1], s[4:5], s16
	s_min_u32 s0, s0, 1
	s_or_b32 s0, s1, s0
	v_cvt_f32_u32_e32 v0, s0
	v_cvt_f32_u32_e32 v1, s18
	s_sub_i32 s0, 32, s16
	s_cmp_gt_i32 s18, s9
	v_ldexp_f32 v0, v0, s0
	v_div_scale_f32 v2, s[0:1], v1, v1, v0
	v_div_scale_f32 v3, vcc, v0, v1, v0
	s_cselect_b64 s[0:1], -1, 0
	s_cmp_lt_u32 s18, 13
	s_load_dword s21, s[6:7], 0x0
	s_mov_b32 s19, 0
	s_mov_b32 s9, 0
	;; [unrolled: 1-line block ×3, first 2 shown]
	v_rcp_f32_e32 v4, v2
	v_fma_f32 v5, -v2, v4, 1.0
	v_fmac_f32_e32 v4, v5, v4
	v_mul_f32_e32 v5, v3, v4
	v_fma_f32 v6, -v2, v5, v3
	v_fmac_f32_e32 v5, v6, v4
	v_fma_f32 v2, -v2, v5, v3
	v_div_fmas_f32 v2, v2, v4, v5
	v_mov_b32_e32 v3, s11
	v_mov_b32_e32 v4, s10
	s_cselect_b64 vcc, -1, 0
	v_cndmask_b32_e32 v3, v3, v4, vcc
	v_cndmask_b32_e64 v3, 1.0, v3, s[0:1]
	s_add_u32 s6, s6, 4
	s_addc_u32 s7, s7, 0
	v_div_fixup_f32 v0, v2, v1, v0
	v_mul_f32_e32 v0, v0, v3
	v_ceil_f32_e32 v0, v0
	v_cvt_i32_f32_e32 v0, v0
	v_mov_b32_e32 v1, 0
	s_load_dword s20, s[6:7], 0x0
	s_waitcnt lgkmcnt(0)
	s_sub_i32 s22, s20, s21
	s_cmp_lt_i32 s22, 1
	s_cbranch_scc1 .LBB6_12
.LBB6_7:
	v_cmp_lt_i32_e32 vcc, s22, v0
	s_and_b64 s[24:25], s[0:1], vcc
	s_mov_b64 s[10:11], -1
	s_and_b64 vcc, exec, s[24:25]
                                        ; implicit-def: $sgpr24
                                        ; implicit-def: $sgpr23
	s_cbranch_vccnz .LBB6_9
; %bb.8:
	s_mul_i32 s10, s17, 3
	s_ashr_i32 s11, s10, 31
	s_lshl_b64 s[10:11], s[10:11], 2
	s_add_u32 s10, s12, s10
	s_addc_u32 s11, s13, s11
	v_mov_b32_e32 v2, s19
	v_mov_b32_e32 v3, s21
	v_mov_b32_e32 v4, s22
	global_store_dwordx3 v1, v[2:4], s[10:11]
	s_add_i32 s23, s17, 1
	s_max_i32 s24, s22, s9
	s_mov_b64 s[10:11], 0
.LBB6_9:
	s_andn2_b64 vcc, exec, s[10:11]
	s_cbranch_vccnz .LBB6_11
; %bb.10:
	s_mul_i32 s10, s16, 3
	s_ashr_i32 s11, s10, 31
	s_lshl_b64 s[10:11], s[10:11], 2
	s_add_u32 s10, s14, s10
	s_addc_u32 s11, s15, s11
	v_mov_b32_e32 v2, s19
	v_mov_b32_e32 v3, s21
	;; [unrolled: 1-line block ×3, first 2 shown]
	s_add_i32 s16, s16, 1
	global_store_dwordx3 v1, v[2:4], s[10:11]
	s_branch .LBB6_12
.LBB6_11:
	s_mov_b32 s9, s24
	s_mov_b32 s17, s23
.LBB6_12:                               ; =>This Inner Loop Header: Depth=1
	s_add_i32 s19, s19, 1
	s_add_u32 s6, s6, 4
	s_addc_u32 s7, s7, 0
	s_cmp_lg_u32 s8, s19
	s_cbranch_scc0 .LBB6_17
; %bb.13:                               ;   in Loop: Header=BB6_12 Depth=1
	s_mov_b32 s21, s20
	s_load_dword s20, s[6:7], 0x0
	s_waitcnt lgkmcnt(0)
	s_sub_i32 s22, s20, s21
	s_cmp_lt_i32 s22, 1
	s_cbranch_scc0 .LBB6_7
	s_branch .LBB6_12
.LBB6_14:
	s_mov_b64 s[4:5], 0
	s_cmp_lg_u32 s18, 0
	s_mov_b32 s17, 0
	s_cbranch_scc1 .LBB6_5
.LBB6_15:
	s_mov_b64 s[4:5], 0
	s_mov_b32 s16, 0
	s_mov_b32 s9, 0
	;; [unrolled: 1-line block ×3, first 2 shown]
	s_branch .LBB6_17
.LBB6_16:
	s_mov_b32 s9, 0
	s_mov_b32 s16, 0
.LBB6_17:
	v_mov_b32_e32 v0, s17
	v_mov_b32_e32 v1, s16
	;; [unrolled: 1-line block ×5, first 2 shown]
	global_store_dwordx4 v4, v[0:3], s[2:3]
	s_nop 0
	v_mov_b32_e32 v0, s4
	v_mov_b32_e32 v1, s5
	global_store_dwordx2 v4, v[0:1], s[2:3] offset:16
.LBB6_18:
	s_endpgm
	.section	.rodata,"a",@progbits
	.p2align	6, 0x0
	.amdhsa_kernel _Z25classify_and_build_queuesPKiiiffPiS1_P8MoEStats
		.amdhsa_group_segment_fixed_size 0
		.amdhsa_private_segment_fixed_size 0
		.amdhsa_kernarg_size 48
		.amdhsa_user_sgpr_count 6
		.amdhsa_user_sgpr_private_segment_buffer 1
		.amdhsa_user_sgpr_dispatch_ptr 0
		.amdhsa_user_sgpr_queue_ptr 0
		.amdhsa_user_sgpr_kernarg_segment_ptr 1
		.amdhsa_user_sgpr_dispatch_id 0
		.amdhsa_user_sgpr_flat_scratch_init 0
		.amdhsa_user_sgpr_private_segment_size 0
		.amdhsa_uses_dynamic_stack 0
		.amdhsa_system_sgpr_private_segment_wavefront_offset 0
		.amdhsa_system_sgpr_workgroup_id_x 1
		.amdhsa_system_sgpr_workgroup_id_y 0
		.amdhsa_system_sgpr_workgroup_id_z 0
		.amdhsa_system_sgpr_workgroup_info 0
		.amdhsa_system_vgpr_workitem_id 0
		.amdhsa_next_free_vgpr 7
		.amdhsa_next_free_sgpr 26
		.amdhsa_reserve_vcc 1
		.amdhsa_reserve_flat_scratch 0
		.amdhsa_float_round_mode_32 0
		.amdhsa_float_round_mode_16_64 0
		.amdhsa_float_denorm_mode_32 3
		.amdhsa_float_denorm_mode_16_64 3
		.amdhsa_dx10_clamp 1
		.amdhsa_ieee_mode 1
		.amdhsa_fp16_overflow 0
		.amdhsa_exception_fp_ieee_invalid_op 0
		.amdhsa_exception_fp_denorm_src 0
		.amdhsa_exception_fp_ieee_div_zero 0
		.amdhsa_exception_fp_ieee_overflow 0
		.amdhsa_exception_fp_ieee_underflow 0
		.amdhsa_exception_fp_ieee_inexact 0
		.amdhsa_exception_int_div_zero 0
	.end_amdhsa_kernel
	.text
.Lfunc_end6:
	.size	_Z25classify_and_build_queuesPKiiiffPiS1_P8MoEStats, .Lfunc_end6-_Z25classify_and_build_queuesPKiiiffPiS1_P8MoEStats
                                        ; -- End function
	.set _Z25classify_and_build_queuesPKiiiffPiS1_P8MoEStats.num_vgpr, 7
	.set _Z25classify_and_build_queuesPKiiiffPiS1_P8MoEStats.num_agpr, 0
	.set _Z25classify_and_build_queuesPKiiiffPiS1_P8MoEStats.numbered_sgpr, 26
	.set _Z25classify_and_build_queuesPKiiiffPiS1_P8MoEStats.num_named_barrier, 0
	.set _Z25classify_and_build_queuesPKiiiffPiS1_P8MoEStats.private_seg_size, 0
	.set _Z25classify_and_build_queuesPKiiiffPiS1_P8MoEStats.uses_vcc, 1
	.set _Z25classify_and_build_queuesPKiiiffPiS1_P8MoEStats.uses_flat_scratch, 0
	.set _Z25classify_and_build_queuesPKiiiffPiS1_P8MoEStats.has_dyn_sized_stack, 0
	.set _Z25classify_and_build_queuesPKiiiffPiS1_P8MoEStats.has_recursion, 0
	.set _Z25classify_and_build_queuesPKiiiffPiS1_P8MoEStats.has_indirect_call, 0
	.section	.AMDGPU.csdata,"",@progbits
; Kernel info:
; codeLenInByte = 676
; TotalNumSgprs: 30
; NumVgprs: 7
; ScratchSize: 0
; MemoryBound: 0
; FloatMode: 240
; IeeeMode: 1
; LDSByteSize: 0 bytes/workgroup (compile time only)
; SGPRBlocks: 3
; VGPRBlocks: 1
; NumSGPRsForWavesPerEU: 30
; NumVGPRsForWavesPerEU: 7
; Occupancy: 10
; WaveLimiterHint : 0
; COMPUTE_PGM_RSRC2:SCRATCH_EN: 0
; COMPUTE_PGM_RSRC2:USER_SGPR: 6
; COMPUTE_PGM_RSRC2:TRAP_HANDLER: 0
; COMPUTE_PGM_RSRC2:TGID_X_EN: 1
; COMPUTE_PGM_RSRC2:TGID_Y_EN: 0
; COMPUTE_PGM_RSRC2:TGID_Z_EN: 0
; COMPUTE_PGM_RSRC2:TIDIG_COMP_CNT: 0
	.section	.AMDGPU.gpr_maximums,"",@progbits
	.set amdgpu.max_num_vgpr, 0
	.set amdgpu.max_num_agpr, 0
	.set amdgpu.max_num_sgpr, 0
	.section	.AMDGPU.csdata,"",@progbits
	.type	__hip_cuid_36a0cedbbd942936,@object ; @__hip_cuid_36a0cedbbd942936
	.section	.bss,"aw",@nobits
	.globl	__hip_cuid_36a0cedbbd942936
__hip_cuid_36a0cedbbd942936:
	.byte	0                               ; 0x0
	.size	__hip_cuid_36a0cedbbd942936, 1

	.ident	"AMD clang version 22.0.0git (https://github.com/RadeonOpenCompute/llvm-project roc-7.2.4 26084 f58b06dce1f9c15707c5f808fd002e18c2accf7e)"
	.section	".note.GNU-stack","",@progbits
	.addrsig
	.addrsig_sym __hip_cuid_36a0cedbbd942936
	.amdgpu_metadata
---
amdhsa.kernels:
  - .args:
      - .actual_access:  read_only
        .address_space:  global
        .offset:         0
        .size:           8
        .value_kind:     global_buffer
      - .actual_access:  read_only
        .address_space:  global
        .offset:         8
        .size:           8
        .value_kind:     global_buffer
      - .offset:         16
        .size:           4
        .value_kind:     by_value
      - .offset:         20
        .size:           4
        .value_kind:     by_value
      - .actual_access:  write_only
        .address_space:  global
        .offset:         24
        .size:           8
        .value_kind:     global_buffer
      - .actual_access:  write_only
        .address_space:  global
        .offset:         32
        .size:           8
        .value_kind:     global_buffer
      - .actual_access:  write_only
        .address_space:  global
        .offset:         40
        .size:           8
        .value_kind:     global_buffer
      - .address_space:  global
        .offset:         48
        .size:           8
        .value_kind:     global_buffer
      - .offset:         56
        .size:           4
        .value_kind:     by_value
      - .offset:         64
        .size:           4
        .value_kind:     hidden_block_count_x
      - .offset:         68
        .size:           4
        .value_kind:     hidden_block_count_y
      - .offset:         72
        .size:           4
        .value_kind:     hidden_block_count_z
      - .offset:         76
        .size:           2
        .value_kind:     hidden_group_size_x
      - .offset:         78
        .size:           2
        .value_kind:     hidden_group_size_y
      - .offset:         80
        .size:           2
        .value_kind:     hidden_group_size_z
      - .offset:         82
        .size:           2
        .value_kind:     hidden_remainder_x
      - .offset:         84
        .size:           2
        .value_kind:     hidden_remainder_y
      - .offset:         86
        .size:           2
        .value_kind:     hidden_remainder_z
      - .offset:         104
        .size:           8
        .value_kind:     hidden_global_offset_x
      - .offset:         112
        .size:           8
        .value_kind:     hidden_global_offset_y
      - .offset:         120
        .size:           8
        .value_kind:     hidden_global_offset_z
      - .offset:         128
        .size:           2
        .value_kind:     hidden_grid_dims
    .group_segment_fixed_size: 0
    .kernarg_segment_align: 8
    .kernarg_segment_size: 320
    .language:       OpenCL C
    .language_version:
      - 2
      - 0
    .max_flat_workgroup_size: 1024
    .name:           _Z23count_tokens_per_expertPKiPKfiiPiS3_PfS3_i
    .private_segment_fixed_size: 0
    .sgpr_count:     18
    .sgpr_spill_count: 0
    .symbol:         _Z23count_tokens_per_expertPKiPKfiiPiS3_PfS3_i.kd
    .uniform_work_group_size: 1
    .uses_dynamic_stack: false
    .vgpr_count:     13
    .vgpr_spill_count: 0
    .wavefront_size: 64
  - .args:
      - .address_space:  global
        .offset:         0
        .size:           8
        .value_kind:     global_buffer
      - .actual_access:  write_only
        .address_space:  global
        .offset:         8
        .size:           8
        .value_kind:     global_buffer
      - .offset:         16
        .size:           4
        .value_kind:     by_value
    .group_segment_fixed_size: 0
    .kernarg_segment_align: 8
    .kernarg_segment_size: 20
    .language:       OpenCL C
    .language_version:
      - 2
      - 0
    .max_flat_workgroup_size: 1024
    .name:           _Z29exclusive_scan_expert_offsetsPiS_i
    .private_segment_fixed_size: 0
    .sgpr_count:     18
    .sgpr_spill_count: 0
    .symbol:         _Z29exclusive_scan_expert_offsetsPiS_i.kd
    .uniform_work_group_size: 1
    .uses_dynamic_stack: false
    .vgpr_count:     17
    .vgpr_spill_count: 0
    .wavefront_size: 64
  - .args:
      - .actual_access:  read_only
        .address_space:  global
        .offset:         0
        .size:           8
        .value_kind:     global_buffer
      - .actual_access:  read_only
        .address_space:  global
        .offset:         8
        .size:           8
        .value_kind:     global_buffer
      - .actual_access:  read_only
        .address_space:  global
        .offset:         16
        .size:           8
        .value_kind:     global_buffer
      - .offset:         24
        .size:           4
        .value_kind:     by_value
      - .actual_access:  read_only
        .address_space:  global
        .offset:         32
        .size:           8
        .value_kind:     global_buffer
      - .address_space:  global
        .offset:         40
        .size:           8
        .value_kind:     global_buffer
      - .actual_access:  write_only
        .address_space:  global
        .offset:         48
        .size:           8
        .value_kind:     global_buffer
      - .actual_access:  write_only
        .address_space:  global
        .offset:         56
        .size:           8
        .value_kind:     global_buffer
      - .offset:         64
        .size:           4
        .value_kind:     hidden_block_count_x
      - .offset:         68
        .size:           4
        .value_kind:     hidden_block_count_y
      - .offset:         72
        .size:           4
        .value_kind:     hidden_block_count_z
      - .offset:         76
        .size:           2
        .value_kind:     hidden_group_size_x
      - .offset:         78
        .size:           2
        .value_kind:     hidden_group_size_y
      - .offset:         80
        .size:           2
        .value_kind:     hidden_group_size_z
      - .offset:         82
        .size:           2
        .value_kind:     hidden_remainder_x
      - .offset:         84
        .size:           2
        .value_kind:     hidden_remainder_y
      - .offset:         86
        .size:           2
        .value_kind:     hidden_remainder_z
      - .offset:         104
        .size:           8
        .value_kind:     hidden_global_offset_x
      - .offset:         112
        .size:           8
        .value_kind:     hidden_global_offset_y
      - .offset:         120
        .size:           8
        .value_kind:     hidden_global_offset_z
      - .offset:         128
        .size:           2
        .value_kind:     hidden_grid_dims
    .group_segment_fixed_size: 0
    .kernarg_segment_align: 8
    .kernarg_segment_size: 320
    .language:       OpenCL C
    .language_version:
      - 2
      - 0
    .max_flat_workgroup_size: 1024
    .name:           _Z24compact_by_expert_kernelPKiS0_PKfiS0_PiS3_Pf
    .private_segment_fixed_size: 0
    .sgpr_count:     20
    .sgpr_spill_count: 0
    .symbol:         _Z24compact_by_expert_kernelPKiS0_PKfiS0_PiS3_Pf.kd
    .uniform_work_group_size: 1
    .uses_dynamic_stack: false
    .vgpr_count:     9
    .vgpr_spill_count: 0
    .wavefront_size: 64
  - .args:
      - .actual_access:  read_only
        .address_space:  global
        .offset:         0
        .size:           8
        .value_kind:     global_buffer
      - .actual_access:  read_only
        .address_space:  global
        .offset:         8
        .size:           8
        .value_kind:     global_buffer
      - .actual_access:  write_only
        .address_space:  global
        .offset:         16
        .size:           8
        .value_kind:     global_buffer
      - .offset:         24
        .size:           4
        .value_kind:     by_value
      - .offset:         28
        .size:           4
        .value_kind:     by_value
      - .offset:         32
        .size:           4
        .value_kind:     hidden_block_count_x
      - .offset:         36
        .size:           4
        .value_kind:     hidden_block_count_y
      - .offset:         40
        .size:           4
        .value_kind:     hidden_block_count_z
      - .offset:         44
        .size:           2
        .value_kind:     hidden_group_size_x
      - .offset:         46
        .size:           2
        .value_kind:     hidden_group_size_y
      - .offset:         48
        .size:           2
        .value_kind:     hidden_group_size_z
      - .offset:         50
        .size:           2
        .value_kind:     hidden_remainder_x
      - .offset:         52
        .size:           2
        .value_kind:     hidden_remainder_y
      - .offset:         54
        .size:           2
        .value_kind:     hidden_remainder_z
      - .offset:         72
        .size:           8
        .value_kind:     hidden_global_offset_x
      - .offset:         80
        .size:           8
        .value_kind:     hidden_global_offset_y
      - .offset:         88
        .size:           8
        .value_kind:     hidden_global_offset_z
      - .offset:         96
        .size:           2
        .value_kind:     hidden_grid_dims
    .group_segment_fixed_size: 0
    .kernarg_segment_align: 8
    .kernarg_segment_size: 288
    .language:       OpenCL C
    .language_version:
      - 2
      - 0
    .max_flat_workgroup_size: 1024
    .name:           _Z23gather_rows_vec4_kernelPKfPKiPfii
    .private_segment_fixed_size: 0
    .sgpr_count:     16
    .sgpr_spill_count: 0
    .symbol:         _Z23gather_rows_vec4_kernelPKfPKiPfii.kd
    .uniform_work_group_size: 1
    .uses_dynamic_stack: false
    .vgpr_count:     7
    .vgpr_spill_count: 0
    .wavefront_size: 64
  - .args:
      - .actual_access:  read_only
        .address_space:  global
        .offset:         0
        .size:           8
        .value_kind:     global_buffer
      - .actual_access:  read_only
        .address_space:  global
        .offset:         8
        .size:           8
        .value_kind:     global_buffer
      - .actual_access:  write_only
        .address_space:  global
        .offset:         16
        .size:           8
        .value_kind:     global_buffer
      - .offset:         24
        .size:           4
        .value_kind:     by_value
      - .offset:         28
        .size:           4
        .value_kind:     by_value
      - .offset:         32
        .size:           4
        .value_kind:     hidden_block_count_x
      - .offset:         36
        .size:           4
        .value_kind:     hidden_block_count_y
      - .offset:         40
        .size:           4
        .value_kind:     hidden_block_count_z
      - .offset:         44
        .size:           2
        .value_kind:     hidden_group_size_x
      - .offset:         46
        .size:           2
        .value_kind:     hidden_group_size_y
      - .offset:         48
        .size:           2
        .value_kind:     hidden_group_size_z
      - .offset:         50
        .size:           2
        .value_kind:     hidden_remainder_x
      - .offset:         52
        .size:           2
        .value_kind:     hidden_remainder_y
      - .offset:         54
        .size:           2
        .value_kind:     hidden_remainder_z
      - .offset:         72
        .size:           8
        .value_kind:     hidden_global_offset_x
      - .offset:         80
        .size:           8
        .value_kind:     hidden_global_offset_y
      - .offset:         88
        .size:           8
        .value_kind:     hidden_global_offset_z
      - .offset:         96
        .size:           2
        .value_kind:     hidden_grid_dims
    .group_segment_fixed_size: 0
    .kernarg_segment_align: 8
    .kernarg_segment_size: 288
    .language:       OpenCL C
    .language_version:
      - 2
      - 0
    .max_flat_workgroup_size: 1024
    .name:           _Z18gather_rows_kernelPKfPKiPfii
    .private_segment_fixed_size: 0
    .sgpr_count:     16
    .sgpr_spill_count: 0
    .symbol:         _Z18gather_rows_kernelPKfPKiPfii.kd
    .uniform_work_group_size: 1
    .uses_dynamic_stack: false
    .vgpr_count:     4
    .vgpr_spill_count: 0
    .wavefront_size: 64
  - .args:
      - .actual_access:  read_only
        .address_space:  global
        .offset:         0
        .size:           8
        .value_kind:     global_buffer
      - .actual_access:  write_only
        .address_space:  global
        .offset:         8
        .size:           8
        .value_kind:     global_buffer
      - .actual_access:  write_only
        .address_space:  global
        .offset:         16
        .size:           8
        .value_kind:     global_buffer
      - .offset:         24
        .size:           4
        .value_kind:     by_value
    .group_segment_fixed_size: 0
    .kernarg_segment_align: 8
    .kernarg_segment_size: 28
    .language:       OpenCL C
    .language_version:
      - 2
      - 0
    .max_flat_workgroup_size: 1024
    .name:           _Z23build_expert_work_queuePKiPiP4Int2i
    .private_segment_fixed_size: 0
    .sgpr_count:     20
    .sgpr_spill_count: 0
    .symbol:         _Z23build_expert_work_queuePKiPiP4Int2i.kd
    .uniform_work_group_size: 1
    .uses_dynamic_stack: false
    .vgpr_count:     4
    .vgpr_spill_count: 0
    .wavefront_size: 64
  - .args:
      - .actual_access:  read_only
        .address_space:  global
        .offset:         0
        .size:           8
        .value_kind:     global_buffer
      - .offset:         8
        .size:           4
        .value_kind:     by_value
      - .offset:         12
        .size:           4
        .value_kind:     by_value
      - .offset:         16
        .size:           4
        .value_kind:     by_value
      - .offset:         20
        .size:           4
        .value_kind:     by_value
      - .actual_access:  write_only
        .address_space:  global
        .offset:         24
        .size:           8
        .value_kind:     global_buffer
      - .actual_access:  write_only
        .address_space:  global
        .offset:         32
        .size:           8
        .value_kind:     global_buffer
      - .actual_access:  write_only
        .address_space:  global
        .offset:         40
        .size:           8
        .value_kind:     global_buffer
    .group_segment_fixed_size: 0
    .kernarg_segment_align: 8
    .kernarg_segment_size: 48
    .language:       OpenCL C
    .language_version:
      - 2
      - 0
    .max_flat_workgroup_size: 1024
    .name:           _Z25classify_and_build_queuesPKiiiffPiS1_P8MoEStats
    .private_segment_fixed_size: 0
    .sgpr_count:     30
    .sgpr_spill_count: 0
    .symbol:         _Z25classify_and_build_queuesPKiiiffPiS1_P8MoEStats.kd
    .uniform_work_group_size: 1
    .uses_dynamic_stack: false
    .vgpr_count:     7
    .vgpr_spill_count: 0
    .wavefront_size: 64
amdhsa.target:   amdgcn-amd-amdhsa--gfx906
amdhsa.version:
  - 1
  - 2
...

	.end_amdgpu_metadata
